;; amdgpu-corpus repo=ROCm/rocFFT kind=compiled arch=gfx1030 opt=O3
	.text
	.amdgcn_target "amdgcn-amd-amdhsa--gfx1030"
	.amdhsa_code_object_version 6
	.protected	fft_rtc_fwd_len243_factors_3_3_9_3_wgs_432_tpt_27_dim2_sp_ip_CI_sbcc_twdbase8_2step_dirReg ; -- Begin function fft_rtc_fwd_len243_factors_3_3_9_3_wgs_432_tpt_27_dim2_sp_ip_CI_sbcc_twdbase8_2step_dirReg
	.globl	fft_rtc_fwd_len243_factors_3_3_9_3_wgs_432_tpt_27_dim2_sp_ip_CI_sbcc_twdbase8_2step_dirReg
	.p2align	8
	.type	fft_rtc_fwd_len243_factors_3_3_9_3_wgs_432_tpt_27_dim2_sp_ip_CI_sbcc_twdbase8_2step_dirReg,@function
fft_rtc_fwd_len243_factors_3_3_9_3_wgs_432_tpt_27_dim2_sp_ip_CI_sbcc_twdbase8_2step_dirReg: ; @fft_rtc_fwd_len243_factors_3_3_9_3_wgs_432_tpt_27_dim2_sp_ip_CI_sbcc_twdbase8_2step_dirReg
; %bb.0:
	s_load_dwordx4 s[0:3], s[4:5], 0x10
	s_mov_b32 s7, 0
	s_mov_b64 s[16:17], 0
	s_waitcnt lgkmcnt(0)
	s_load_dwordx2 s[12:13], s[0:1], 0x8
	s_load_dwordx2 s[10:11], s[4:5], 0x50
	;; [unrolled: 1-line block ×3, first 2 shown]
	s_waitcnt lgkmcnt(0)
	s_add_u32 s0, s12, -1
	s_addc_u32 s1, s13, -1
	s_lshr_b64 s[0:1], s[0:1], 4
	s_add_u32 s14, s0, 1
	s_addc_u32 s15, s1, 0
	v_cmp_lt_u64_e64 s0, s[6:7], s[14:15]
	s_and_b32 vcc_lo, exec_lo, s0
	s_cbranch_vccnz .LBB0_2
; %bb.1:
	v_cvt_f32_u32_e32 v1, s14
	s_sub_i32 s1, 0, s14
	v_rcp_iflag_f32_e32 v1, v1
	v_mul_f32_e32 v1, 0x4f7ffffe, v1
	v_cvt_u32_f32_e32 v1, v1
	v_readfirstlane_b32 s0, v1
	s_mul_i32 s1, s1, s0
	s_mul_hi_u32 s1, s0, s1
	s_add_i32 s0, s0, s1
	s_mul_hi_u32 s0, s6, s0
	s_mul_i32 s1, s0, s14
	s_add_i32 s7, s0, 1
	s_sub_i32 s1, s6, s1
	s_sub_i32 s16, s1, s14
	s_cmp_ge_u32 s1, s14
	s_cselect_b32 s0, s7, s0
	s_cselect_b32 s1, s16, s1
	s_add_i32 s7, s0, 1
	s_cmp_ge_u32 s1, s14
	s_cselect_b32 s16, s7, s0
.LBB0_2:
	s_load_dwordx4 s[0:3], s[2:3], 0x8
	s_mul_i32 s7, s16, s15
	s_mul_hi_u32 s15, s16, s14
	s_mul_i32 s14, s16, s14
	s_add_i32 s15, s15, s7
	s_sub_u32 s14, s6, s14
	s_subb_u32 s15, 0, s15
	s_load_dwordx2 s[6:7], s[4:5], 0x0
	v_alignbit_b32 v1, s15, s14, 28
	s_lshl_b64 s[14:15], s[14:15], 4
	v_and_b32_e32 v27, 15, v0
	v_mov_b32_e32 v2, s15
	v_lshrrev_b32_e32 v28, 4, v0
	v_readfirstlane_b32 s17, v1
	v_or_b32_e32 v1, s14, v27
	s_waitcnt lgkmcnt(0)
	s_mul_i32 s18, s14, s1
	s_mul_hi_u32 s19, s14, s0
	s_mul_i32 s17, s17, s0
	s_mul_i32 s3, s3, s16
	s_mul_hi_u32 s21, s2, s16
	s_mul_i32 s2, s2, s16
	s_add_i32 s16, s19, s18
	s_mul_i32 s20, s14, s0
	s_add_i32 s21, s21, s3
	s_add_i32 s16, s16, s17
	s_add_u32 s2, s2, s20
	s_addc_u32 s3, s21, s16
	s_add_u32 s16, s14, 16
	s_addc_u32 s17, s15, 0
	v_cmp_gt_u64_e64 s18, s[16:17], s[12:13]
	v_cmp_le_u64_e64 s14, s[16:17], s[12:13]
	s_and_b32 vcc_lo, exec_lo, s18
	s_cbranch_vccz .LBB0_8
; %bb.3:
	s_mov_b32 s15, exec_lo
                                        ; implicit-def: $vgpr29
                                        ; implicit-def: $vgpr30
                                        ; implicit-def: $vgpr3_vgpr4
                                        ; implicit-def: $vgpr5_vgpr6
	v_cmpx_le_u64_e64 s[12:13], v[1:2]
	s_xor_b32 s15, exec_lo, s15
                                        ; implicit-def: $vgpr7_vgpr8
; %bb.4:
	v_mov_b32_e32 v8, 0
	v_add_nc_u32_e32 v29, 27, v28
	v_add_nc_u32_e32 v30, 54, v28
	;; [unrolled: 1-line block ×4, first 2 shown]
	v_mov_b32_e32 v4, v8
	v_mov_b32_e32 v6, v8
; %bb.5:
	s_or_saveexec_b32 s15, s15
                                        ; implicit-def: $vgpr11
                                        ; implicit-def: $vgpr23
                                        ; implicit-def: $vgpr13
                                        ; implicit-def: $vgpr15
                                        ; implicit-def: $vgpr19
                                        ; implicit-def: $vgpr25
                                        ; implicit-def: $vgpr9
                                        ; implicit-def: $vgpr17
                                        ; implicit-def: $vgpr21
	s_xor_b32 exec_lo, exec_lo, s15
	s_cbranch_execz .LBB0_7
; %bb.6:
	v_mad_u64_u32 v[6:7], null, s0, v27, 0
	v_mad_u64_u32 v[8:9], null, s8, v28, 0
	v_add_nc_u32_e32 v5, 0xa2, v28
	v_add_nc_u32_e32 v3, 0x51, v28
	s_lshl_b64 s[16:17], s[2:3], 3
	v_add_nc_u32_e32 v29, 27, v28
	v_mov_b32_e32 v4, v7
	s_add_u32 s16, s10, s16
	v_mov_b32_e32 v7, v9
	s_addc_u32 s17, s11, s17
	v_add_nc_u32_e32 v18, 0xbd, v28
	v_mad_u64_u32 v[9:10], null, s1, v27, v[4:5]
	v_mad_u64_u32 v[10:11], null, s8, v3, 0
	;; [unrolled: 1-line block ×4, first 2 shown]
	v_mov_b32_e32 v7, v9
	v_add_nc_u32_e32 v30, 54, v28
	v_mov_b32_e32 v4, v11
	v_add_nc_u32_e32 v38, 0x87, v28
	v_mov_b32_e32 v9, v12
	v_lshlrev_b64 v[6:7], 3, v[6:7]
	v_mov_b32_e32 v12, v14
	v_mad_u64_u32 v[14:15], null, s9, v3, v[4:5]
	v_lshlrev_b64 v[8:9], 3, v[8:9]
	v_mad_u64_u32 v[25:26], null, s8, v30, 0
	v_add_co_u32 v36, vcc_lo, s16, v6
	v_add_co_ci_u32_e32 v37, vcc_lo, s17, v7, vcc_lo
	v_mad_u64_u32 v[6:7], null, s8, v29, 0
	v_mov_b32_e32 v11, v14
	v_mad_u64_u32 v[14:15], null, s9, v5, v[12:13]
	v_add_nc_u32_e32 v12, 0x6c, v28
	v_add_co_u32 v8, vcc_lo, v36, v8
	v_mov_b32_e32 v4, v7
	v_lshlrev_b64 v[10:11], 3, v[10:11]
	v_mad_u64_u32 v[19:20], null, s8, v12, 0
	v_add_co_ci_u32_e32 v9, vcc_lo, v37, v9, vcc_lo
	v_mad_u64_u32 v[15:16], null, s9, v29, v[4:5]
	v_add_co_u32 v16, vcc_lo, v36, v10
	v_add_co_ci_u32_e32 v17, vcc_lo, v37, v11, vcc_lo
	v_lshlrev_b64 v[10:11], 3, v[13:14]
	v_mad_u64_u32 v[13:14], null, s8, v18, 0
	v_mov_b32_e32 v4, v20
	v_mov_b32_e32 v7, v15
	v_add_nc_u32_e32 v39, 0xd8, v28
	v_add_co_u32 v23, vcc_lo, v36, v10
	v_add_co_ci_u32_e32 v24, vcc_lo, v37, v11, vcc_lo
	v_mad_u64_u32 v[10:11], null, s9, v12, v[4:5]
	v_mov_b32_e32 v4, v14
	v_mad_u64_u32 v[31:32], null, s8, v38, 0
	v_lshlrev_b64 v[6:7], 3, v[6:7]
	v_mad_u64_u32 v[14:15], null, s9, v18, v[4:5]
	v_mov_b32_e32 v4, v26
	v_mov_b32_e32 v20, v10
	v_add_co_u32 v6, vcc_lo, v36, v6
	v_add_co_ci_u32_e32 v7, vcc_lo, v37, v7, vcc_lo
	v_mad_u64_u32 v[33:34], null, s9, v30, v[4:5]
	v_mad_u64_u32 v[34:35], null, s8, v39, 0
	v_mov_b32_e32 v4, v32
	s_clause 0x3
	global_load_dwordx2 v[11:12], v[8:9], off
	global_load_dwordx2 v[21:22], v[16:17], off
	;; [unrolled: 1-line block ×4, first 2 shown]
	v_lshlrev_b64 v[6:7], 3, v[19:20]
	v_lshlrev_b64 v[13:14], 3, v[13:14]
	v_mov_b32_e32 v26, v33
	v_mad_u64_u32 v[15:16], null, s9, v38, v[4:5]
	v_mov_b32_e32 v4, v35
	v_add_co_u32 v6, vcc_lo, v36, v6
	v_lshlrev_b64 v[23:24], 3, v[25:26]
	v_add_co_ci_u32_e32 v7, vcc_lo, v37, v7, vcc_lo
	v_mad_u64_u32 v[19:20], null, s9, v39, v[4:5]
	v_mov_b32_e32 v32, v15
	v_add_co_u32 v13, vcc_lo, v36, v13
	v_add_co_ci_u32_e32 v14, vcc_lo, v37, v14, vcc_lo
	v_lshlrev_b64 v[15:16], 3, v[31:32]
	v_mov_b32_e32 v35, v19
	v_add_co_u32 v19, vcc_lo, v36, v23
	v_add_co_ci_u32_e32 v20, vcc_lo, v37, v24, vcc_lo
	v_lshlrev_b64 v[23:24], 3, v[34:35]
	v_add_co_u32 v15, vcc_lo, v36, v15
	v_add_co_ci_u32_e32 v16, vcc_lo, v37, v16, vcc_lo
	v_mov_b32_e32 v8, 0
	v_add_co_u32 v31, vcc_lo, v36, v23
	v_add_co_ci_u32_e32 v32, vcc_lo, v37, v24, vcc_lo
	s_clause 0x4
	global_load_dwordx2 v[25:26], v[6:7], off
	global_load_dwordx2 v[23:24], v[13:14], off
	;; [unrolled: 1-line block ×5, first 2 shown]
	v_mov_b32_e32 v4, v8
	v_mov_b32_e32 v6, v8
.LBB0_7:
	s_or_b32 exec_lo, exec_lo, s15
	s_cbranch_execz .LBB0_9
	s_branch .LBB0_10
.LBB0_8:
                                        ; implicit-def: $vgpr11
                                        ; implicit-def: $vgpr23
                                        ; implicit-def: $vgpr13
                                        ; implicit-def: $vgpr15
                                        ; implicit-def: $vgpr19
                                        ; implicit-def: $vgpr25
                                        ; implicit-def: $vgpr9
                                        ; implicit-def: $vgpr17
                                        ; implicit-def: $vgpr21
                                        ; implicit-def: $vgpr29
                                        ; implicit-def: $vgpr30
                                        ; implicit-def: $vgpr3_vgpr4
                                        ; implicit-def: $vgpr5_vgpr6
                                        ; implicit-def: $vgpr7_vgpr8
.LBB0_9:
	v_mad_u64_u32 v[6:7], null, s0, v27, 0
	s_waitcnt vmcnt(5)
	v_mad_u64_u32 v[8:9], null, s8, v28, 0
	v_add_nc_u32_e32 v5, 0xa2, v28
	v_add_nc_u32_e32 v3, 0x51, v28
	s_lshl_b64 s[16:17], s[2:3], 3
	v_add_nc_u32_e32 v29, 27, v28
	v_mov_b32_e32 v4, v7
	s_add_u32 s15, s10, s16
	v_mov_b32_e32 v7, v9
	s_addc_u32 s16, s11, s17
	v_add_nc_u32_e32 v18, 0xbd, v28
	v_mad_u64_u32 v[9:10], null, s1, v27, v[4:5]
	v_mad_u64_u32 v[10:11], null, s8, v3, 0
	s_waitcnt vmcnt(2)
	v_mad_u64_u32 v[12:13], null, s9, v28, v[7:8]
	v_mad_u64_u32 v[13:14], null, s8, v5, 0
	v_mov_b32_e32 v7, v9
	v_add_nc_u32_e32 v30, 54, v28
	v_mov_b32_e32 v4, v11
	v_add_nc_u32_e32 v38, 0x87, v28
	v_mov_b32_e32 v9, v12
	v_lshlrev_b64 v[6:7], 3, v[6:7]
	v_mov_b32_e32 v12, v14
	s_waitcnt vmcnt(1)
	v_mad_u64_u32 v[14:15], null, s9, v3, v[4:5]
	v_lshlrev_b64 v[8:9], 3, v[8:9]
	v_mad_u64_u32 v[25:26], null, s8, v30, 0
	v_add_co_u32 v36, vcc_lo, s15, v6
	v_add_co_ci_u32_e32 v37, vcc_lo, s16, v7, vcc_lo
	v_mad_u64_u32 v[6:7], null, s8, v29, 0
	v_mov_b32_e32 v11, v14
	v_mad_u64_u32 v[14:15], null, s9, v5, v[12:13]
	v_add_nc_u32_e32 v12, 0x6c, v28
	v_add_co_u32 v8, vcc_lo, v36, v8
	v_mov_b32_e32 v4, v7
	v_lshlrev_b64 v[10:11], 3, v[10:11]
	s_waitcnt vmcnt(0)
	v_mad_u64_u32 v[19:20], null, s8, v12, 0
	v_add_co_ci_u32_e32 v9, vcc_lo, v37, v9, vcc_lo
	v_mad_u64_u32 v[15:16], null, s9, v29, v[4:5]
	v_add_co_u32 v16, vcc_lo, v36, v10
	v_add_co_ci_u32_e32 v17, vcc_lo, v37, v11, vcc_lo
	v_lshlrev_b64 v[10:11], 3, v[13:14]
	v_mad_u64_u32 v[13:14], null, s8, v18, 0
	v_mov_b32_e32 v4, v20
	v_mov_b32_e32 v7, v15
	v_add_nc_u32_e32 v39, 0xd8, v28
	v_add_co_u32 v23, vcc_lo, v36, v10
	v_add_co_ci_u32_e32 v24, vcc_lo, v37, v11, vcc_lo
	v_mad_u64_u32 v[10:11], null, s9, v12, v[4:5]
	v_mov_b32_e32 v4, v14
	v_mad_u64_u32 v[31:32], null, s8, v38, 0
	v_lshlrev_b64 v[6:7], 3, v[6:7]
	v_mad_u64_u32 v[14:15], null, s9, v18, v[4:5]
	v_mov_b32_e32 v4, v26
	v_mov_b32_e32 v20, v10
	v_add_co_u32 v6, vcc_lo, v36, v6
	v_add_co_ci_u32_e32 v7, vcc_lo, v37, v7, vcc_lo
	v_mad_u64_u32 v[33:34], null, s9, v30, v[4:5]
	v_mad_u64_u32 v[34:35], null, s8, v39, 0
	v_mov_b32_e32 v4, v32
	s_clause 0x3
	global_load_dwordx2 v[11:12], v[8:9], off
	global_load_dwordx2 v[21:22], v[16:17], off
	;; [unrolled: 1-line block ×4, first 2 shown]
	v_lshlrev_b64 v[6:7], 3, v[19:20]
	v_lshlrev_b64 v[13:14], 3, v[13:14]
	v_mov_b32_e32 v26, v33
	v_mad_u64_u32 v[15:16], null, s9, v38, v[4:5]
	v_mov_b32_e32 v4, v35
	v_add_co_u32 v6, vcc_lo, v36, v6
	v_lshlrev_b64 v[23:24], 3, v[25:26]
	v_add_co_ci_u32_e32 v7, vcc_lo, v37, v7, vcc_lo
	v_mad_u64_u32 v[19:20], null, s9, v39, v[4:5]
	v_mov_b32_e32 v32, v15
	v_add_co_u32 v13, vcc_lo, v36, v13
	v_add_co_ci_u32_e32 v14, vcc_lo, v37, v14, vcc_lo
	v_lshlrev_b64 v[15:16], 3, v[31:32]
	v_mov_b32_e32 v35, v19
	v_add_co_u32 v19, vcc_lo, v36, v23
	v_add_co_ci_u32_e32 v20, vcc_lo, v37, v24, vcc_lo
	v_lshlrev_b64 v[23:24], 3, v[34:35]
	v_add_co_u32 v15, vcc_lo, v36, v15
	v_add_co_ci_u32_e32 v16, vcc_lo, v37, v16, vcc_lo
	v_mov_b32_e32 v8, 0
	v_add_co_u32 v31, vcc_lo, v36, v23
	v_add_co_ci_u32_e32 v32, vcc_lo, v37, v24, vcc_lo
	s_clause 0x4
	global_load_dwordx2 v[25:26], v[6:7], off
	global_load_dwordx2 v[23:24], v[13:14], off
	;; [unrolled: 1-line block ×5, first 2 shown]
	v_mov_b32_e32 v4, v8
	v_mov_b32_e32 v6, v8
.LBB0_10:
	s_waitcnt vmcnt(6)
	v_add_f32_e32 v7, v21, v17
	v_add_f32_e32 v33, v22, v18
	;; [unrolled: 1-line block ×3, first 2 shown]
	v_sub_f32_e32 v32, v22, v18
	v_add_f32_e32 v22, v22, v12
	v_fmac_f32_e32 v11, -0.5, v7
	v_sub_f32_e32 v7, v21, v17
	s_waitcnt vmcnt(3)
	v_add_f32_e32 v34, v25, v23
	v_fmac_f32_e32 v12, -0.5, v33
	v_add_f32_e32 v17, v17, v31
	v_fmamk_f32 v21, v32, 0x3f5db3d7, v11
	v_fmac_f32_e32 v11, 0xbf5db3d7, v32
	v_add_f32_e32 v18, v18, v22
	v_fmamk_f32 v22, v7, 0xbf5db3d7, v12
	v_add_f32_e32 v31, v9, v25
	v_fmac_f32_e32 v9, -0.5, v34
	v_sub_f32_e32 v32, v26, v24
	v_add_f32_e32 v34, v26, v24
	v_fmac_f32_e32 v12, 0x3f5db3d7, v7
	v_add_f32_e32 v7, v10, v26
	v_add_f32_e32 v31, v31, v23
	v_fmamk_f32 v33, v32, 0x3f5db3d7, v9
	v_fmac_f32_e32 v10, -0.5, v34
	v_sub_f32_e32 v23, v25, v23
	v_fmac_f32_e32 v9, 0xbf5db3d7, v32
	v_add_f32_e32 v32, v7, v24
	s_waitcnt vmcnt(1)
	v_add_f32_e32 v7, v15, v13
	s_waitcnt vmcnt(0)
	v_add_f32_e32 v24, v19, v15
	v_add_f32_e32 v25, v20, v16
	v_fmamk_f32 v34, v23, 0xbf5db3d7, v10
	v_fmac_f32_e32 v10, 0x3f5db3d7, v23
	v_add_f32_e32 v23, v19, v7
	v_fmac_f32_e32 v13, -0.5, v24
	v_sub_f32_e32 v7, v16, v20
	v_add_f32_e32 v24, v16, v14
	v_fmac_f32_e32 v14, -0.5, v25
	v_mul_u32_u24_e32 v25, 0x180, v28
	v_lshlrev_b32_e32 v16, 3, v27
	v_sub_f32_e32 v15, v15, v19
	v_fmamk_f32 v19, v7, 0x3f5db3d7, v13
	v_fmac_f32_e32 v13, 0xbf5db3d7, v7
	v_add_f32_e32 v24, v20, v24
	v_add3_u32 v7, 0, v25, v16
	v_fmamk_f32 v20, v15, 0xbf5db3d7, v14
	v_fmac_f32_e32 v14, 0x3f5db3d7, v15
	v_mul_lo_u16 v15, 0x56, v28
	ds_write2_b64 v7, v[17:18], v[21:22] offset1:16
	ds_write_b64 v7, v[11:12] offset:256
	v_and_b32_e32 v11, 0xff, v29
	v_mul_i32_i24_e32 v12, 0x180, v30
	v_and_b32_e32 v17, 0xff, v30
	v_lshrrev_b16 v15, 8, v15
	v_mul_i32_i24_e32 v25, 0x180, v29
	v_mul_lo_u16 v11, 0xab, v11
	v_add3_u32 v26, 0, v12, v16
	v_mul_lo_u16 v12, 0xab, v17
	v_mul_lo_u16 v18, v15, 3
	v_add3_u32 v25, 0, v25, v16
	v_lshrrev_b16 v43, 9, v11
	v_mov_b32_e32 v46, 9
	v_lshrrev_b16 v44, 9, v12
	v_sub_nc_u16 v11, v28, v18
	ds_write2_b64 v25, v[31:32], v[33:34] offset1:16
	ds_write_b64 v25, v[9:10] offset:256
	ds_write2_b64 v26, v[23:24], v[19:20] offset1:16
	v_mul_lo_u16 v9, v43, 3
	v_mul_lo_u16 v10, v44, 3
	v_and_b32_e32 v45, 0xff, v11
	ds_write_b64 v26, v[13:14] offset:256
	s_waitcnt lgkmcnt(0)
	v_sub_nc_u16 v9, v29, v9
	v_sub_nc_u16 v10, v30, v10
	v_lshlrev_b32_e32 v11, 4, v45
	s_barrier
	buffer_gl0_inv
	v_and_b32_e32 v47, 0xff, v9
	v_and_b32_e32 v48, 0xff, v10
	global_load_dwordx4 v[11:14], v11, s[6:7]
	v_lshlrev_b32_e32 v31, 8, v29
	v_lshlrev_b32_e32 v32, 8, v30
	;; [unrolled: 1-line block ×4, first 2 shown]
	s_clause 0x1
	global_load_dwordx4 v[17:20], v9, s[6:7]
	global_load_dwordx4 v[21:24], v10, s[6:7]
	v_mul_lo_u16 v9, v28, 29
	v_lshlrev_b32_e32 v10, 8, v28
	v_mul_u32_u24_sdwa v15, v15, v46 dst_sel:DWORD dst_unused:UNUSED_PAD src0_sel:WORD_0 src1_sel:DWORD
	v_mul_u32_u24_sdwa v51, v43, v46 dst_sel:DWORD dst_unused:UNUSED_PAD src0_sel:WORD_0 src1_sel:DWORD
	;; [unrolled: 1-line block ×3, first 2 shown]
	v_lshrrev_b16 v49, 8, v9
	v_sub_nc_u32_e32 v9, v7, v10
	v_sub_nc_u32_e32 v10, v25, v31
	;; [unrolled: 1-line block ×3, first 2 shown]
	ds_read_b64 v[25:26], v9
	ds_read_b64 v[31:32], v9 offset:10368
	ds_read_b64 v[33:34], v9 offset:20736
	;; [unrolled: 1-line block ×3, first 2 shown]
	v_mul_lo_u16 v37, v49, 9
	v_add_lshl_u32 v15, v15, v45, 7
	v_add_lshl_u32 v47, v51, v47, 7
	v_add_lshl_u32 v48, v52, v48, 7
	v_cmp_gt_u64_e32 vcc_lo, s[12:13], v[1:2]
	v_sub_nc_u16 v50, v28, v37
	ds_read_b64 v[37:38], v7
	ds_read_b64 v[39:40], v9 offset:13824
	ds_read_b64 v[41:42], v9 offset:17280
	ds_read_b64 v[43:44], v10
	ds_read_b64 v[45:46], v9 offset:27648
	v_add3_u32 v15, 0, v15, v16
	v_add3_u32 v47, 0, v47, v16
	v_and_b32_e32 v50, 0xff, v50
	v_add3_u32 v48, 0, v48, v16
	s_waitcnt vmcnt(0) lgkmcnt(0)
	s_barrier
	buffer_gl0_inv
	v_lshlrev_b32_e32 v53, 6, v50
	s_or_b32 s12, s14, vcc_lo
	v_mul_f32_e32 v51, v12, v32
	v_mul_f32_e32 v12, v12, v31
	;; [unrolled: 1-line block ×4, first 2 shown]
	v_fma_f32 v31, v11, v31, -v51
	v_fmac_f32_e32 v12, v11, v32
	v_fma_f32 v11, v13, v33, -v52
	v_fmac_f32_e32 v14, v13, v34
	v_mul_f32_e32 v13, v18, v40
	v_mul_f32_e32 v18, v18, v39
	v_mul_f32_e32 v32, v20, v36
	v_mul_f32_e32 v20, v20, v35
	v_mul_f32_e32 v33, v22, v42
	v_mul_f32_e32 v22, v22, v41
	v_mul_f32_e32 v34, v46, v24
	v_mul_f32_e32 v24, v45, v24
	v_fma_f32 v13, v17, v39, -v13
	v_fmac_f32_e32 v18, v17, v40
	v_fma_f32 v17, v19, v35, -v32
	v_fmac_f32_e32 v20, v19, v36
	v_add_f32_e32 v32, v31, v11
	v_fma_f32 v19, v21, v41, -v33
	v_fmac_f32_e32 v22, v21, v42
	v_fma_f32 v21, v45, v23, -v34
	v_fmac_f32_e32 v24, v46, v23
	v_add_f32_e32 v35, v12, v14
	v_add_f32_e32 v23, v25, v31
	;; [unrolled: 1-line block ×3, first 2 shown]
	v_fma_f32 v25, -0.5, v32, v25
	v_add_f32_e32 v32, v13, v17
	v_add_f32_e32 v36, v18, v20
	;; [unrolled: 1-line block ×3, first 2 shown]
	v_sub_f32_e32 v42, v22, v24
	v_add_f32_e32 v45, v38, v22
	v_add_f32_e32 v22, v22, v24
	v_sub_f32_e32 v33, v12, v14
	v_sub_f32_e32 v31, v31, v11
	v_fmac_f32_e32 v26, -0.5, v35
	v_add_f32_e32 v11, v23, v11
	v_add_f32_e32 v12, v34, v14
	v_add_f32_e32 v23, v43, v13
	v_sub_f32_e32 v34, v18, v20
	v_add_f32_e32 v35, v44, v18
	v_sub_f32_e32 v39, v13, v17
	v_add_f32_e32 v40, v37, v19
	v_fma_f32 v43, -0.5, v32, v43
	v_fmac_f32_e32 v44, -0.5, v36
	v_sub_f32_e32 v46, v19, v21
	v_fma_f32 v37, -0.5, v41, v37
	v_fmac_f32_e32 v38, -0.5, v22
	v_fmamk_f32 v13, v33, 0x3f5db3d7, v25
	v_fmamk_f32 v14, v31, 0xbf5db3d7, v26
	v_fmac_f32_e32 v25, 0xbf5db3d7, v33
	v_fmac_f32_e32 v26, 0x3f5db3d7, v31
	v_add_f32_e32 v17, v23, v17
	v_add_f32_e32 v18, v35, v20
	;; [unrolled: 1-line block ×3, first 2 shown]
	v_fmamk_f32 v21, v34, 0x3f5db3d7, v43
	v_fmamk_f32 v22, v39, 0xbf5db3d7, v44
	v_fmac_f32_e32 v43, 0xbf5db3d7, v34
	v_fmac_f32_e32 v44, 0x3f5db3d7, v39
	v_add_f32_e32 v20, v45, v24
	v_fmamk_f32 v23, v42, 0x3f5db3d7, v37
	v_fmamk_f32 v24, v46, 0xbf5db3d7, v38
	v_fmac_f32_e32 v37, 0xbf5db3d7, v42
	v_fmac_f32_e32 v38, 0x3f5db3d7, v46
	ds_write2_b64 v15, v[11:12], v[13:14] offset1:48
	ds_write_b64 v15, v[25:26] offset:768
	ds_write2_b64 v47, v[17:18], v[21:22] offset1:48
	ds_write_b64 v47, v[43:44] offset:768
	;; [unrolled: 2-line block ×3, first 2 shown]
	s_waitcnt lgkmcnt(0)
	s_barrier
	buffer_gl0_inv
	s_clause 0x3
	global_load_dwordx4 v[11:14], v53, s[6:7] offset:48
	global_load_dwordx4 v[17:20], v53, s[6:7] offset:64
	;; [unrolled: 1-line block ×4, first 2 shown]
	v_mov_b32_e32 v15, 0x51
	ds_read_b64 v[25:26], v10
	ds_read_b64 v[35:36], v7
	ds_read_b64 v[37:38], v9 offset:10368
	ds_read_b64 v[39:40], v9 offset:13824
	v_mul_u32_u24_sdwa v15, v49, v15 dst_sel:DWORD dst_unused:UNUSED_PAD src0_sel:WORD_0 src1_sel:DWORD
	v_add_lshl_u32 v15, v15, v50, 7
	v_add3_u32 v2, 0, v15, v16
	ds_read_b64 v[15:16], v9 offset:17280
	ds_read_b64 v[41:42], v9
	ds_read_b64 v[43:44], v9 offset:20736
	ds_read_b64 v[45:46], v9 offset:24192
	;; [unrolled: 1-line block ×3, first 2 shown]
	s_waitcnt vmcnt(0) lgkmcnt(0)
	v_add_nc_u32_e32 v49, 0x800, v2
	v_add_nc_u32_e32 v51, 0x1800, v2
	;; [unrolled: 1-line block ×3, first 2 shown]
	s_barrier
	buffer_gl0_inv
	v_mul_f32_e32 v52, v12, v26
	v_mul_f32_e32 v12, v12, v25
	;; [unrolled: 1-line block ×13, first 2 shown]
	v_fma_f32 v25, v11, v25, -v52
	v_fmac_f32_e32 v12, v11, v26
	v_mul_f32_e32 v11, v45, v32
	v_mul_f32_e32 v26, v48, v34
	v_fma_f32 v32, v13, v35, -v53
	v_fmac_f32_e32 v14, v13, v36
	v_mul_f32_e32 v13, v47, v34
	v_fma_f32 v34, v17, v37, -v54
	v_fmac_f32_e32 v18, v17, v38
	v_fma_f32 v17, v19, v39, -v55
	v_fmac_f32_e32 v20, v19, v40
	;; [unrolled: 2-line block ×5, first 2 shown]
	v_fmac_f32_e32 v24, v44, v23
	v_fma_f32 v16, v43, v23, -v57
	v_add_f32_e32 v23, v25, v19
	v_add_f32_e32 v26, v12, v13
	;; [unrolled: 1-line block ×5, first 2 shown]
	v_sub_f32_e32 v19, v25, v19
	v_sub_f32_e32 v18, v18, v24
	v_sub_f32_e32 v24, v17, v15
	v_add_f32_e32 v35, v34, v16
	v_sub_f32_e32 v21, v32, v21
	v_sub_f32_e32 v16, v34, v16
	;; [unrolled: 1-line block ×3, first 2 shown]
	v_add_f32_e32 v32, v17, v15
	v_add_f32_e32 v34, v20, v22
	v_mul_f32_e32 v37, 0x3f248dbb, v19
	v_mul_f32_e32 v43, 0xbf248dbb, v24
	v_add_f32_e32 v52, v31, v23
	v_add_f32_e32 v53, v33, v26
	v_mul_f32_e32 v54, 0x3f7c1c5c, v24
	v_sub_f32_e32 v13, v12, v13
	v_mul_f32_e32 v44, 0xbf248dbb, v25
	v_fmac_f32_e32 v37, 0x3f7c1c5c, v21
	v_fmac_f32_e32 v43, 0x3f7c1c5c, v19
	v_add_f32_e32 v57, v32, v52
	v_add_f32_e32 v58, v34, v53
	v_fma_f32 v54, 0xbf248dbb, v21, -v54
	v_add_f32_e32 v52, v35, v52
	v_add_f32_e32 v53, v36, v53
	v_fmac_f32_e32 v44, 0x3f7c1c5c, v13
	v_fmac_f32_e32 v37, 0x3f5db3d7, v16
	;; [unrolled: 1-line block ×4, first 2 shown]
	v_add_f32_e32 v16, v17, v52
	v_add_f32_e32 v17, v20, v53
	v_sub_f32_e32 v14, v14, v11
	v_mul_f32_e32 v38, 0x3f248dbb, v13
	v_add_f32_e32 v48, v25, v13
	v_mul_f32_e32 v55, 0x3f7c1c5c, v25
	v_fmac_f32_e32 v44, 0xbf5db3d7, v18
	v_add_f32_e32 v17, v22, v17
	v_fmamk_f32 v45, v32, 0x3f441b7d, v41
	v_fmamk_f32 v46, v34, 0x3f441b7d, v42
	;; [unrolled: 1-line block ×4, first 2 shown]
	v_add_f32_e32 v12, v36, v42
	v_fmamk_f32 v56, v31, 0x3f441b7d, v41
	v_fmac_f32_e32 v38, 0x3f7c1c5c, v14
	v_sub_f32_e32 v48, v48, v14
	v_fma_f32 v55, 0xbf248dbb, v14, -v55
	v_fmac_f32_e32 v44, 0x3eaf1d44, v14
	v_add_f32_e32 v14, v42, v17
	v_fmac_f32_e32 v42, 0x3f441b7d, v33
	v_fmac_f32_e32 v45, 0x3e31d0d4, v23
	;; [unrolled: 1-line block ×7, first 2 shown]
	v_add_f32_e32 v47, v24, v19
	v_add_f32_e32 v11, v35, v41
	v_fmac_f32_e32 v45, -0.5, v35
	v_fmac_f32_e32 v46, -0.5, v36
	v_fmac_f32_e32 v38, 0x3f5db3d7, v18
	v_fmac_f32_e32 v39, -0.5, v35
	v_fmac_f32_e32 v40, -0.5, v36
	v_fmac_f32_e32 v55, 0x3f5db3d7, v18
	v_fmac_f32_e32 v56, -0.5, v35
	v_fmac_f32_e32 v42, -0.5, v36
	v_sub_f32_e32 v47, v47, v21
	v_fmac_f32_e32 v11, -0.5, v57
	v_fmac_f32_e32 v12, -0.5, v58
	v_fmac_f32_e32 v43, 0x3eaf1d44, v21
	v_fmac_f32_e32 v45, 0xbf708fb2, v31
	;; [unrolled: 1-line block ×11, first 2 shown]
	v_add_f32_e32 v13, v15, v16
	v_mul_f32_e32 v59, 0x3f5db3d7, v47
	v_mul_f32_e32 v60, 0x3f5db3d7, v48
	v_fmac_f32_e32 v11, 0x3f5db3d7, v48
	v_fmac_f32_e32 v12, 0xbf5db3d7, v47
	v_add_f32_e32 v17, v44, v45
	v_sub_f32_e32 v18, v46, v43
	v_add_f32_e32 v15, v38, v39
	v_sub_f32_e32 v16, v40, v37
	;; [unrolled: 2-line block ×3, first 2 shown]
	v_add_f32_e32 v13, v41, v13
	v_fma_f32 v19, -2.0, v60, v11
	v_fma_f32 v20, 2.0, v59, v12
	v_fma_f32 v25, -2.0, v44, v17
	v_fma_f32 v26, 2.0, v43, v18
	;; [unrolled: 2-line block ×4, first 2 shown]
	ds_write2_b64 v2, v[13:14], v[15:16] offset1:144
	ds_write2_b64 v49, v[17:18], v[11:12] offset0:32 offset1:176
	ds_write2_b64 v51, v[19:20], v[25:26] offset0:96 offset1:240
	ds_write_b64 v2, v[23:24] offset:9216
	ds_write2_b64 v50, v[21:22], v[31:32] offset0:64 offset1:208
	s_waitcnt lgkmcnt(0)
	s_barrier
	buffer_gl0_inv
	s_and_saveexec_b32 s13, s12
	s_cbranch_execz .LBB0_12
; %bb.11:
	v_subrev_nc_u32_e32 v2, 27, v28
	v_cmp_gt_u32_e32 vcc_lo, 0x1b0, v0
	v_subrev_nc_u32_e32 v17, 54, v28
	v_mov_b32_e32 v20, 0
	s_load_dwordx2 s[4:5], s[4:5], 0x8
	v_mov_b32_e32 v47, 3
	v_cndmask_b32_e32 v45, v2, v30, vcc_lo
	v_cmp_gt_u32_e32 vcc_lo, 0x360, v0
	v_lshlrev_b32_e32 v2, 4, v28
	v_mul_lo_u32 v48, v1, v28
	v_mul_lo_u32 v8, s8, v8
	v_lshlrev_b32_e32 v19, 1, v45
	v_cndmask_b32_e32 v46, v17, v29, vcc_lo
	global_load_dwordx4 v[11:14], v2, s[6:7] offset:624
	v_mul_lo_u32 v2, v1, v5
	v_mul_lo_u32 v52, v1, v45
	v_lshlrev_b64 v[15:16], 3, v[19:20]
	v_lshlrev_b32_e32 v19, 1, v46
	v_mul_lo_u32 v53, v1, v46
	v_lshlrev_b32_sdwa v50, v47, v48 dst_sel:DWORD dst_unused:UNUSED_PAD src0_sel:DWORD src1_sel:BYTE_0
	v_bfe_u32 v48, v48, 8, 8
	v_add_nc_u32_e32 v51, 0xa2, v45
	v_add_co_u32 v15, vcc_lo, s6, v15
	v_add_co_ci_u32_e32 v16, vcc_lo, s7, v16, vcc_lo
	v_lshlrev_b64 v[19:20], 3, v[19:20]
	v_bfe_u32 v23, v2, 8, 8
	v_lshlrev_b32_sdwa v2, v47, v2 dst_sel:DWORD dst_unused:UNUSED_PAD src0_sel:DWORD src1_sel:BYTE_0
	global_load_dwordx4 v[15:18], v[15:16], off offset:624
	v_lshl_or_b32 v48, v48, 3, 0x800
	v_mul_lo_u32 v51, v1, v51
	v_add_co_u32 v19, vcc_lo, s6, v19
	v_add_co_ci_u32_e32 v20, vcc_lo, s7, v20, vcc_lo
	v_lshl_or_b32 v25, v23, 3, 0x800
	v_cmp_lt_u32_e32 vcc_lo, 0x35f, v0
	v_mul_lo_u32 v6, s8, v6
	global_load_dwordx4 v[19:22], v[19:20], off offset:624
	s_waitcnt lgkmcnt(0)
	s_clause 0x1
	global_load_dwordx2 v[23:24], v2, s[4:5]
	global_load_dwordx2 v[25:26], v25, s[4:5]
	ds_read_b64 v[31:32], v9 offset:10368
	ds_read_b64 v[33:34], v9 offset:20736
	v_mul_lo_u32 v2, v1, v3
	ds_read_b64 v[35:36], v9 offset:17280
	ds_read_b64 v[37:38], v9 offset:13824
	ds_read_b64 v[39:40], v10
	ds_read_b64 v[41:42], v9 offset:27648
	ds_read_b64 v[43:44], v9 offset:24192
	ds_read_b64 v[9:10], v9
	v_lshlrev_b32_sdwa v49, v47, v2 dst_sel:DWORD dst_unused:UNUSED_PAD src0_sel:DWORD src1_sel:BYTE_0
	v_bfe_u32 v2, v2, 8, 8
	v_lshl_or_b32 v2, v2, 3, 0x800
	s_waitcnt vmcnt(4) lgkmcnt(7)
	v_mul_f32_e32 v54, v12, v32
	v_mul_f32_e32 v55, v12, v31
	s_waitcnt lgkmcnt(6)
	v_mul_f32_e32 v56, v14, v34
	v_mul_f32_e32 v57, v14, v33
	v_fma_f32 v54, v11, v31, -v54
	v_fmac_f32_e32 v55, v11, v32
	s_clause 0x1
	global_load_dwordx2 v[11:12], v49, s[4:5]
	global_load_dwordx2 v[31:32], v2, s[4:5]
	v_fma_f32 v49, v13, v33, -v56
	v_fmac_f32_e32 v57, v13, v34
	v_bfe_u32 v33, v52, 8, 8
	v_lshlrev_b32_sdwa v2, v47, v52 dst_sel:DWORD dst_unused:UNUSED_PAD src0_sel:DWORD src1_sel:BYTE_0
	v_lshlrev_b32_sdwa v56, v47, v53 dst_sel:DWORD dst_unused:UNUSED_PAD src0_sel:DWORD src1_sel:BYTE_0
	v_lshl_or_b32 v33, v33, 3, 0x800
	s_waitcnt vmcnt(5) lgkmcnt(5)
	v_mul_f32_e32 v13, v16, v36
	v_mul_f32_e32 v52, v16, v35
	s_waitcnt lgkmcnt(2)
	v_mul_f32_e32 v34, v42, v18
	v_mul_f32_e32 v58, v41, v18
	v_fma_f32 v59, v15, v35, -v13
	v_bfe_u32 v35, v53, 8, 8
	v_fmac_f32_e32 v52, v15, v36
	s_clause 0x1
	global_load_dwordx2 v[13:14], v50, s[4:5]
	global_load_dwordx2 v[15:16], v48, s[4:5]
	v_fma_f32 v48, v41, v17, -v34
	v_fmac_f32_e32 v58, v42, v17
	s_clause 0x1
	global_load_dwordx2 v[17:18], v2, s[4:5]
	global_load_dwordx2 v[33:34], v33, s[4:5]
	s_waitcnt vmcnt(8)
	v_mul_f32_e32 v2, v20, v38
	v_mul_f32_e32 v50, v20, v37
	s_waitcnt lgkmcnt(1)
	v_mul_f32_e32 v20, v22, v44
	v_mul_f32_e32 v53, v22, v43
	v_lshl_or_b32 v35, v35, 3, 0x800
	v_fma_f32 v60, v19, v37, -v2
	v_fmac_f32_e32 v50, v19, v38
	v_fma_f32 v43, v21, v43, -v20
	v_fmac_f32_e32 v53, v21, v44
	s_clause 0x1
	global_load_dwordx2 v[19:20], v56, s[4:5]
	global_load_dwordx2 v[21:22], v35, s[4:5]
	v_bfe_u32 v2, v51, 8, 8
	v_lshlrev_b32_sdwa v35, v47, v51 dst_sel:DWORD dst_unused:UNUSED_PAD src0_sel:DWORD src1_sel:BYTE_0
	v_mad_u64_u32 v[41:42], null, s8, v28, 0
	s_waitcnt vmcnt(8)
	v_mul_f32_e32 v44, v24, v26
	v_lshl_or_b32 v2, v2, 3, 0x800
	s_clause 0x1
	global_load_dwordx2 v[35:36], v35, s[4:5]
	global_load_dwordx2 v[37:38], v2, s[4:5]
	v_mul_lo_u32 v2, s9, v28
	v_mul_f32_e32 v51, v23, v26
	v_cndmask_b32_e64 v26, 0, 0xa2, vcc_lo
	v_cmp_lt_u32_e32 vcc_lo, 0x1af, v0
	v_mul_lo_u32 v28, s9, v5
	v_fma_f32 v44, v23, v25, -v44
	v_fmac_f32_e32 v51, v24, v25
	v_mad_u64_u32 v[23:24], null, s0, v27, 0
	v_add3_u32 v42, v42, v8, v2
	v_mul_lo_u32 v8, s8, v4
	v_mad_u64_u32 v[4:5], null, s8, v5, 0
	v_mul_lo_u32 v25, s9, v3
	v_mad_u64_u32 v[2:3], null, s8, v3, 0
	v_cndmask_b32_e64 v0, 0, 0xa2, vcc_lo
	v_add_nc_u32_e32 v26, v26, v29
	v_add3_u32 v5, v5, v6, v28
	v_add_nc_u32_e32 v29, v0, v30
	v_mov_b32_e32 v0, v24
	v_add_nc_u32_e32 v24, 0xa2, v46
	v_add3_u32 v3, v3, v8, v25
	v_add_nc_u32_e32 v8, 0x51, v45
	v_add_nc_u32_e32 v25, 0x51, v46
	;; [unrolled: 1-line block ×3, first 2 shown]
	v_mul_lo_u32 v30, v1, v24
	v_lshlrev_b64 v[4:5], 3, v[4:5]
	v_mul_lo_u32 v8, v1, v8
	s_waitcnt vmcnt(8)
	v_mul_f32_e32 v6, v12, v32
	v_mul_f32_e32 v56, v11, v32
	v_fma_f32 v45, v11, v31, -v6
	v_fmac_f32_e32 v56, v12, v31
	v_mad_u64_u32 v[11:12], null, s8, v26, 0
	v_add_nc_u32_e32 v6, 0x51, v26
	v_mul_lo_u32 v31, v1, v25
	v_mad_u64_u32 v[0:1], null, s1, v27, v[0:1]
	s_lshl_b64 s[0:1], s[2:3], 3
	s_add_u32 s0, s10, s0
	s_addc_u32 s1, s11, s1
	s_waitcnt vmcnt(6)
	v_mul_f32_e32 v24, v14, v16
	v_mul_f32_e32 v46, v13, v16
	v_lshlrev_b32_sdwa v32, v47, v31 dst_sel:DWORD dst_unused:UNUSED_PAD src0_sel:DWORD src1_sel:BYTE_0
	s_waitcnt vmcnt(4)
	v_mul_f32_e32 v1, v18, v34
	v_mul_f32_e32 v62, v17, v34
	v_fma_f32 v61, v13, v15, -v24
	v_fmac_f32_e32 v46, v14, v15
	v_mad_u64_u32 v[13:14], null, s8, v6, 0
	v_fma_f32 v63, v17, v33, -v1
	v_mov_b32_e32 v1, v12
	v_mov_b32_e32 v24, v0
	v_bfe_u32 v15, v8, 8, 8
	s_waitcnt vmcnt(2)
	v_mul_f32_e32 v25, v20, v22
	v_mul_f32_e32 v64, v19, v22
	v_mad_u64_u32 v[0:1], null, s9, v26, v[1:2]
	v_mov_b32_e32 v1, v14
	v_fma_f32 v65, v19, v21, -v25
	v_fmac_f32_e32 v64, v20, v21
	v_mad_u64_u32 v[19:20], null, s8, v29, 0
	v_mad_u64_u32 v[25:26], null, s9, v6, v[1:2]
	;; [unrolled: 1-line block ×3, first 2 shown]
	v_lshlrev_b32_sdwa v8, v47, v8 dst_sel:DWORD dst_unused:UNUSED_PAD src0_sel:DWORD src1_sel:BYTE_0
	v_add_nc_u32_e32 v6, 0x51, v29
	v_mov_b32_e32 v1, v20
	v_lshl_or_b32 v12, v15, 3, 0x800
	v_fmac_f32_e32 v62, v18, v33
	s_clause 0x1
	global_load_dwordx2 v[15:16], v8, s[4:5]
	global_load_dwordx2 v[17:18], v12, s[4:5]
	v_mad_u64_u32 v[26:27], null, s9, v29, v[1:2]
	v_mov_b32_e32 v12, v0
	v_mov_b32_e32 v0, v22
	s_waitcnt vmcnt(2)
	v_mul_f32_e32 v8, v36, v38
	v_lshlrev_b64 v[23:24], 3, v[23:24]
	v_mov_b32_e32 v14, v25
	v_bfe_u32 v25, v30, 8, 8
	v_mov_b32_e32 v20, v26
	v_mad_u64_u32 v[26:27], null, s8, v6, 0
	v_mad_u64_u32 v[0:1], null, s9, v28, v[0:1]
	v_fma_f32 v67, v35, v37, -v8
	v_add_nc_u32_e32 v8, 0xa2, v29
	v_bfe_u32 v33, v31, 8, 8
	v_lshlrev_b64 v[11:12], 3, v[11:12]
	v_mov_b32_e32 v1, v27
	v_lshlrev_b64 v[19:20], 3, v[19:20]
	v_mov_b32_e32 v22, v0
	v_lshlrev_b64 v[13:14], 3, v[13:14]
	v_mul_f32_e32 v66, v35, v38
	v_mad_u64_u32 v[27:28], null, s9, v6, v[1:2]
	v_mad_u64_u32 v[0:1], null, s8, v8, 0
	v_lshlrev_b64 v[2:3], 3, v[2:3]
	v_lshlrev_b64 v[28:29], 3, v[41:42]
	v_lshlrev_b32_sdwa v6, v47, v30 dst_sel:DWORD dst_unused:UNUSED_PAD src0_sel:DWORD src1_sel:BYTE_0
	v_lshlrev_b64 v[21:22], 3, v[21:22]
	v_fmac_f32_e32 v66, v36, v37
	v_lshl_or_b32 v33, v33, 3, 0x800
	v_mad_u64_u32 v[30:31], null, s9, v8, v[1:2]
	v_add_co_u32 v31, vcc_lo, s0, v23
	v_add_co_ci_u32_e32 v34, vcc_lo, s1, v24, vcc_lo
	v_lshl_or_b32 v8, v25, 3, 0x800
	v_add_co_u32 v23, vcc_lo, v31, v28
	v_add_co_ci_u32_e32 v24, vcc_lo, v34, v29, vcc_lo
	v_add_co_u32 v2, vcc_lo, v31, v2
	v_add_co_ci_u32_e32 v3, vcc_lo, v34, v3, vcc_lo
	;; [unrolled: 2-line block ×3, first 2 shown]
	v_add_co_u32 v11, vcc_lo, v31, v11
	v_lshlrev_b64 v[25:26], 3, v[26:27]
	v_add_co_ci_u32_e32 v12, vcc_lo, v34, v12, vcc_lo
	v_add_f32_e32 v27, v55, v57
	v_add_co_u32 v19, vcc_lo, v31, v19
	v_mov_b32_e32 v1, v30
	v_add_co_ci_u32_e32 v20, vcc_lo, v34, v20, vcc_lo
	v_add_co_u32 v13, vcc_lo, v31, v13
	v_add_f32_e32 v28, v54, v49
	v_sub_f32_e32 v29, v54, v49
	s_waitcnt lgkmcnt(0)
	v_fma_f32 v37, -0.5, v27, v10
	v_add_co_ci_u32_e32 v14, vcc_lo, v34, v14, vcc_lo
	v_lshlrev_b64 v[0:1], 3, v[0:1]
	v_add_co_u32 v21, vcc_lo, v31, v21
	v_add_co_ci_u32_e32 v22, vcc_lo, v34, v22, vcc_lo
	v_add_co_u32 v25, vcc_lo, v31, v25
	v_sub_f32_e32 v27, v55, v57
	v_fma_f32 v35, -0.5, v28, v9
	v_fmamk_f32 v36, v29, 0x3f5db3d7, v37
	v_add_co_ci_u32_e32 v26, vcc_lo, v34, v26, vcc_lo
	v_add_co_u32 v0, vcc_lo, v31, v0
	v_add_co_ci_u32_e32 v1, vcc_lo, v34, v1, vcc_lo
	v_fmamk_f32 v31, v27, 0xbf5db3d7, v35
	v_mul_f32_e32 v34, v36, v51
	v_add_f32_e32 v38, v9, v54
	v_fmac_f32_e32 v37, 0xbf5db3d7, v29
	v_fmac_f32_e32 v35, 0x3f5db3d7, v27
	v_mul_f32_e32 v9, v31, v51
	s_clause 0x1
	global_load_dwordx2 v[27:28], v6, s[4:5]
	global_load_dwordx2 v[29:30], v8, s[4:5]
	v_fma_f32 v8, v31, v44, -v34
	s_clause 0x1
	global_load_dwordx2 v[31:32], v32, s[4:5]
	global_load_dwordx2 v[33:34], v33, s[4:5]
	ds_read_b64 v[6:7], v7
	v_add_f32_e32 v10, v10, v55
	v_mul_f32_e32 v41, v37, v56
	v_add_f32_e32 v42, v38, v49
	v_fmac_f32_e32 v9, v36, v44
	v_mul_f32_e32 v36, v35, v56
	v_add_f32_e32 v10, v10, v57
	v_fma_f32 v35, v35, v45, -v41
	v_mul_f32_e32 v38, v42, v46
	v_fmac_f32_e32 v36, v37, v45
	v_mul_f32_e32 v41, v10, v46
	v_fmac_f32_e32 v38, v10, v61
	v_fma_f32 v37, v42, v61, -v41
	global_store_dwordx2 v[23:24], v[37:38], off
	global_store_dwordx2 v[2:3], v[35:36], off
	;; [unrolled: 1-line block ×3, first 2 shown]
	s_waitcnt lgkmcnt(0)
	v_add_f32_e32 v45, v7, v52
	v_add_f32_e32 v46, v6, v59
	;; [unrolled: 1-line block ×3, first 2 shown]
	v_sub_f32_e32 v8, v60, v43
	v_sub_f32_e32 v9, v50, v53
	v_add_f32_e32 v2, v45, v58
	v_add_f32_e32 v4, v46, v48
	v_mul_f32_e32 v3, v4, v62
	v_fmac_f32_e32 v3, v2, v63
	s_waitcnt vmcnt(4)
	v_mul_f32_e32 v44, v16, v18
	v_mul_f32_e32 v18, v15, v18
	v_fma_f32 v42, v15, v17, -v44
	v_fmac_f32_e32 v18, v16, v17
	v_add_f32_e32 v16, v52, v58
	v_add_f32_e32 v17, v59, v48
	v_sub_f32_e32 v15, v59, v48
	v_sub_f32_e32 v44, v52, v58
	v_fma_f32 v23, -0.5, v16, v7
	v_add_f32_e32 v7, v60, v43
	v_fma_f32 v6, -0.5, v17, v6
	v_add_f32_e32 v16, v40, v50
	v_add_f32_e32 v17, v39, v60
	v_fmamk_f32 v24, v15, 0x3f5db3d7, v23
	v_fmac_f32_e32 v23, 0xbf5db3d7, v15
	v_mul_f32_e32 v15, v2, v62
	v_add_f32_e32 v17, v17, v43
	v_fma_f32 v2, v4, v63, -v15
	s_waitcnt vmcnt(2)
	v_mul_f32_e32 v41, v28, v30
	v_mul_f32_e32 v30, v27, v30
	s_waitcnt vmcnt(0)
	v_mul_f32_e32 v10, v32, v34
	v_mul_f32_e32 v34, v31, v34
	v_fma_f32 v27, v27, v29, -v41
	v_fmac_f32_e32 v30, v28, v29
	v_fma_f32 v10, v31, v33, -v10
	v_fma_f32 v29, -0.5, v5, v40
	v_fma_f32 v31, -0.5, v7, v39
	v_fmamk_f32 v28, v44, 0xbf5db3d7, v6
	v_fmac_f32_e32 v34, v32, v33
	v_add_f32_e32 v32, v16, v53
	v_fmac_f32_e32 v6, 0x3f5db3d7, v44
	v_mul_f32_e32 v16, v24, v66
	v_fmamk_f32 v15, v8, 0x3f5db3d7, v29
	v_fmamk_f32 v35, v9, 0xbf5db3d7, v31
	v_fmac_f32_e32 v29, 0xbf5db3d7, v8
	v_fmac_f32_e32 v31, 0x3f5db3d7, v9
	v_mul_f32_e32 v5, v28, v66
	v_mul_f32_e32 v9, v17, v64
	v_mul_f32_e32 v8, v32, v64
	v_mul_f32_e32 v7, v6, v18
	v_mul_f32_e32 v33, v23, v18
	v_fma_f32 v4, v28, v67, -v16
	v_mul_f32_e32 v18, v31, v34
	v_mul_f32_e32 v28, v29, v34
	v_fmac_f32_e32 v5, v24, v67
	v_mul_f32_e32 v16, v35, v30
	v_mul_f32_e32 v24, v15, v30
	v_fmac_f32_e32 v9, v32, v65
	v_fma_f32 v8, v17, v65, -v8
	v_fmac_f32_e32 v18, v29, v10
	v_fma_f32 v17, v31, v10, -v28
	;; [unrolled: 2-line block ×4, first 2 shown]
	global_store_dwordx2 v[11:12], v[8:9], off
	global_store_dwordx2 v[13:14], v[17:18], off
	global_store_dwordx2 v[21:22], v[15:16], off
	global_store_dwordx2 v[19:20], v[2:3], off
	global_store_dwordx2 v[25:26], v[6:7], off
	global_store_dwordx2 v[0:1], v[4:5], off
.LBB0_12:
	s_endpgm
	.section	.rodata,"a",@progbits
	.p2align	6, 0x0
	.amdhsa_kernel fft_rtc_fwd_len243_factors_3_3_9_3_wgs_432_tpt_27_dim2_sp_ip_CI_sbcc_twdbase8_2step_dirReg
		.amdhsa_group_segment_fixed_size 0
		.amdhsa_private_segment_fixed_size 0
		.amdhsa_kernarg_size 88
		.amdhsa_user_sgpr_count 6
		.amdhsa_user_sgpr_private_segment_buffer 1
		.amdhsa_user_sgpr_dispatch_ptr 0
		.amdhsa_user_sgpr_queue_ptr 0
		.amdhsa_user_sgpr_kernarg_segment_ptr 1
		.amdhsa_user_sgpr_dispatch_id 0
		.amdhsa_user_sgpr_flat_scratch_init 0
		.amdhsa_user_sgpr_private_segment_size 0
		.amdhsa_wavefront_size32 1
		.amdhsa_uses_dynamic_stack 0
		.amdhsa_system_sgpr_private_segment_wavefront_offset 0
		.amdhsa_system_sgpr_workgroup_id_x 1
		.amdhsa_system_sgpr_workgroup_id_y 0
		.amdhsa_system_sgpr_workgroup_id_z 0
		.amdhsa_system_sgpr_workgroup_info 0
		.amdhsa_system_vgpr_workitem_id 0
		.amdhsa_next_free_vgpr 68
		.amdhsa_next_free_sgpr 22
		.amdhsa_reserve_vcc 1
		.amdhsa_reserve_flat_scratch 0
		.amdhsa_float_round_mode_32 0
		.amdhsa_float_round_mode_16_64 0
		.amdhsa_float_denorm_mode_32 3
		.amdhsa_float_denorm_mode_16_64 3
		.amdhsa_dx10_clamp 1
		.amdhsa_ieee_mode 1
		.amdhsa_fp16_overflow 0
		.amdhsa_workgroup_processor_mode 1
		.amdhsa_memory_ordered 1
		.amdhsa_forward_progress 0
		.amdhsa_shared_vgpr_count 0
		.amdhsa_exception_fp_ieee_invalid_op 0
		.amdhsa_exception_fp_denorm_src 0
		.amdhsa_exception_fp_ieee_div_zero 0
		.amdhsa_exception_fp_ieee_overflow 0
		.amdhsa_exception_fp_ieee_underflow 0
		.amdhsa_exception_fp_ieee_inexact 0
		.amdhsa_exception_int_div_zero 0
	.end_amdhsa_kernel
	.text
.Lfunc_end0:
	.size	fft_rtc_fwd_len243_factors_3_3_9_3_wgs_432_tpt_27_dim2_sp_ip_CI_sbcc_twdbase8_2step_dirReg, .Lfunc_end0-fft_rtc_fwd_len243_factors_3_3_9_3_wgs_432_tpt_27_dim2_sp_ip_CI_sbcc_twdbase8_2step_dirReg
                                        ; -- End function
	.section	.AMDGPU.csdata,"",@progbits
; Kernel info:
; codeLenInByte = 5972
; NumSgprs: 24
; NumVgprs: 68
; ScratchSize: 0
; MemoryBound: 0
; FloatMode: 240
; IeeeMode: 1
; LDSByteSize: 0 bytes/workgroup (compile time only)
; SGPRBlocks: 2
; VGPRBlocks: 8
; NumSGPRsForWavesPerEU: 24
; NumVGPRsForWavesPerEU: 68
; Occupancy: 12
; WaveLimiterHint : 1
; COMPUTE_PGM_RSRC2:SCRATCH_EN: 0
; COMPUTE_PGM_RSRC2:USER_SGPR: 6
; COMPUTE_PGM_RSRC2:TRAP_HANDLER: 0
; COMPUTE_PGM_RSRC2:TGID_X_EN: 1
; COMPUTE_PGM_RSRC2:TGID_Y_EN: 0
; COMPUTE_PGM_RSRC2:TGID_Z_EN: 0
; COMPUTE_PGM_RSRC2:TIDIG_COMP_CNT: 0
	.text
	.p2alignl 6, 3214868480
	.fill 48, 4, 3214868480
	.type	__hip_cuid_ab21c9bbd08d1d2e,@object ; @__hip_cuid_ab21c9bbd08d1d2e
	.section	.bss,"aw",@nobits
	.globl	__hip_cuid_ab21c9bbd08d1d2e
__hip_cuid_ab21c9bbd08d1d2e:
	.byte	0                               ; 0x0
	.size	__hip_cuid_ab21c9bbd08d1d2e, 1

	.ident	"AMD clang version 19.0.0git (https://github.com/RadeonOpenCompute/llvm-project roc-6.4.0 25133 c7fe45cf4b819c5991fe208aaa96edf142730f1d)"
	.section	".note.GNU-stack","",@progbits
	.addrsig
	.addrsig_sym __hip_cuid_ab21c9bbd08d1d2e
	.amdgpu_metadata
---
amdhsa.kernels:
  - .args:
      - .actual_access:  read_only
        .address_space:  global
        .offset:         0
        .size:           8
        .value_kind:     global_buffer
      - .address_space:  global
        .offset:         8
        .size:           8
        .value_kind:     global_buffer
      - .actual_access:  read_only
        .address_space:  global
        .offset:         16
        .size:           8
        .value_kind:     global_buffer
      - .actual_access:  read_only
        .address_space:  global
        .offset:         24
        .size:           8
        .value_kind:     global_buffer
      - .offset:         32
        .size:           8
        .value_kind:     by_value
      - .actual_access:  read_only
        .address_space:  global
        .offset:         40
        .size:           8
        .value_kind:     global_buffer
      - .actual_access:  read_only
        .address_space:  global
        .offset:         48
        .size:           8
        .value_kind:     global_buffer
      - .offset:         56
        .size:           4
        .value_kind:     by_value
      - .actual_access:  read_only
        .address_space:  global
        .offset:         64
        .size:           8
        .value_kind:     global_buffer
      - .actual_access:  read_only
        .address_space:  global
        .offset:         72
        .size:           8
        .value_kind:     global_buffer
      - .address_space:  global
        .offset:         80
        .size:           8
        .value_kind:     global_buffer
    .group_segment_fixed_size: 0
    .kernarg_segment_align: 8
    .kernarg_segment_size: 88
    .language:       OpenCL C
    .language_version:
      - 2
      - 0
    .max_flat_workgroup_size: 432
    .name:           fft_rtc_fwd_len243_factors_3_3_9_3_wgs_432_tpt_27_dim2_sp_ip_CI_sbcc_twdbase8_2step_dirReg
    .private_segment_fixed_size: 0
    .sgpr_count:     24
    .sgpr_spill_count: 0
    .symbol:         fft_rtc_fwd_len243_factors_3_3_9_3_wgs_432_tpt_27_dim2_sp_ip_CI_sbcc_twdbase8_2step_dirReg.kd
    .uniform_work_group_size: 1
    .uses_dynamic_stack: false
    .vgpr_count:     68
    .vgpr_spill_count: 0
    .wavefront_size: 32
    .workgroup_processor_mode: 1
amdhsa.target:   amdgcn-amd-amdhsa--gfx1030
amdhsa.version:
  - 1
  - 2
...

	.end_amdgpu_metadata
